;; amdgpu-corpus repo=ROCm/rocFFT kind=compiled arch=gfx90a opt=O3
	.text
	.amdgcn_target "amdgcn-amd-amdhsa--gfx90a"
	.amdhsa_code_object_version 6
	.protected	bluestein_single_fwd_len360_dim1_dp_op_CI_CI ; -- Begin function bluestein_single_fwd_len360_dim1_dp_op_CI_CI
	.globl	bluestein_single_fwd_len360_dim1_dp_op_CI_CI
	.p2align	8
	.type	bluestein_single_fwd_len360_dim1_dp_op_CI_CI,@function
bluestein_single_fwd_len360_dim1_dp_op_CI_CI: ; @bluestein_single_fwd_len360_dim1_dp_op_CI_CI
; %bb.0:
	s_load_dwordx4 s[0:3], s[4:5], 0x28
	v_mul_u32_u24_e32 v1, 0x445, v0
	v_lshrrev_b32_e32 v1, 16, v1
	v_lshl_add_u32 v88, s6, 2, v1
	v_mov_b32_e32 v89, 0
	s_waitcnt lgkmcnt(0)
	v_cmp_gt_u64_e32 vcc, s[0:1], v[88:89]
	s_and_saveexec_b64 s[0:1], vcc
	s_cbranch_execz .LBB0_15
; %bb.1:
	s_load_dwordx2 s[14:15], s[4:5], 0x0
	s_load_dwordx2 s[12:13], s[4:5], 0x38
	v_mul_lo_u16_e32 v2, 60, v1
	v_sub_u16_e32 v89, v0, v2
	v_and_b32_e32 v0, 3, v1
	v_mul_u32_u24_e32 v90, 0x168, v0
	v_cmp_gt_u16_e64 s[0:1], 36, v89
	v_lshlrev_b32_e32 v94, 4, v89
	v_lshlrev_b32_e32 v95, 4, v90
	s_and_saveexec_b64 s[6:7], s[0:1]
	s_cbranch_execz .LBB0_3
; %bb.2:
	s_load_dwordx2 s[8:9], s[4:5], 0x18
	v_mov_b32_e32 v74, 0x240
	v_lshl_add_u32 v84, v89, 4, v95
	v_add_u32_e32 v85, v95, v94
	s_waitcnt lgkmcnt(0)
	s_load_dwordx4 s[8:11], s[8:9], 0x0
	s_waitcnt lgkmcnt(0)
	v_mad_u64_u32 v[0:1], s[16:17], s10, v88, 0
	v_mov_b32_e32 v4, v1
	v_mad_u64_u32 v[2:3], s[16:17], s8, v89, 0
	v_mad_u64_u32 v[4:5], s[10:11], s11, v88, v[4:5]
	v_mov_b32_e32 v6, v3
	v_mov_b32_e32 v1, v4
	v_mad_u64_u32 v[6:7], s[10:11], s9, v89, v[6:7]
	v_lshlrev_b64 v[0:1], 4, v[0:1]
	v_mov_b32_e32 v3, v6
	v_mov_b32_e32 v4, s3
	v_add_co_u32_e32 v5, vcc, s2, v0
	v_addc_co_u32_e32 v6, vcc, v4, v1, vcc
	v_lshlrev_b64 v[0:1], 4, v[2:3]
	v_add_co_u32_e32 v4, vcc, v5, v0
	v_addc_co_u32_e32 v5, vcc, v6, v1, vcc
	v_mad_u64_u32 v[20:21], s[2:3], s8, v74, v[4:5]
	s_mul_i32 s2, s9, 0x240
	v_add_u32_e32 v21, s2, v21
	global_load_dwordx4 v[0:3], v[4:5], off
	v_mov_b32_e32 v6, s15
	v_add_co_u32_e32 v68, vcc, s14, v94
	v_mad_u64_u32 v[22:23], s[10:11], s8, v74, v[20:21]
	v_addc_co_u32_e32 v69, vcc, 0, v6, vcc
	global_load_dwordx4 v[4:7], v94, s[14:15]
	global_load_dwordx4 v[8:11], v94, s[14:15] offset:576
	v_add_u32_e32 v23, s2, v23
	global_load_dwordx4 v[12:15], v[20:21], off
	global_load_dwordx4 v[16:19], v[22:23], off
	v_mad_u64_u32 v[36:37], s[10:11], s8, v74, v[22:23]
	v_add_u32_e32 v37, s2, v37
	global_load_dwordx4 v[20:23], v94, s[14:15] offset:1152
	global_load_dwordx4 v[24:27], v94, s[14:15] offset:1728
	v_mad_u64_u32 v[38:39], s[10:11], s8, v74, v[36:37]
	v_add_u32_e32 v39, s2, v39
	global_load_dwordx4 v[28:31], v[36:37], off
	global_load_dwordx4 v[32:35], v[38:39], off
	v_mad_u64_u32 v[48:49], s[10:11], s8, v74, v[38:39]
	v_add_u32_e32 v49, s2, v49
	global_load_dwordx4 v[36:39], v[48:49], off
	global_load_dwordx4 v[40:43], v94, s[14:15] offset:2304
	global_load_dwordx4 v[44:47], v94, s[14:15] offset:2880
	v_mad_u64_u32 v[52:53], s[10:11], s8, v74, v[48:49]
	v_add_u32_e32 v53, s2, v53
	v_mad_u64_u32 v[64:65], s[10:11], s8, v74, v[52:53]
	global_load_dwordx4 v[48:51], v[52:53], off
	v_add_u32_e32 v65, s2, v65
	global_load_dwordx4 v[52:55], v[64:65], off
	global_load_dwordx4 v[56:59], v94, s[14:15] offset:3456
	global_load_dwordx4 v[60:63], v94, s[14:15] offset:4032
	s_movk_i32 s3, 0x1000
	v_mad_u64_u32 v[72:73], s[10:11], s8, v74, v[64:65]
	v_add_co_u32_e32 v80, vcc, s3, v68
	v_add_u32_e32 v73, s2, v73
	v_addc_co_u32_e32 v81, vcc, 0, v69, vcc
	global_load_dwordx4 v[64:67], v[72:73], off
	global_load_dwordx4 v[68:71], v[80:81], off offset:512
	v_mad_u64_u32 v[82:83], s[8:9], s8, v74, v[72:73]
	v_add_u32_e32 v83, s2, v83
	global_load_dwordx4 v[72:75], v[80:81], off offset:1088
	global_load_dwordx4 v[76:79], v[82:83], off
	s_waitcnt vmcnt(18)
	v_mul_f64 v[80:81], v[2:3], v[6:7]
	v_mul_f64 v[6:7], v[0:1], v[6:7]
	v_fmac_f64_e32 v[80:81], v[0:1], v[4:5]
	v_fma_f64 v[82:83], v[2:3], v[4:5], -v[6:7]
	s_waitcnt vmcnt(16)
	v_mul_f64 v[0:1], v[14:15], v[10:11]
	v_mul_f64 v[2:3], v[12:13], v[10:11]
	v_fmac_f64_e32 v[0:1], v[12:13], v[8:9]
	v_fma_f64 v[2:3], v[14:15], v[8:9], -v[2:3]
	ds_write_b128 v84, v[80:83]
	ds_write_b128 v85, v[0:3] offset:576
	s_waitcnt vmcnt(14)
	v_mul_f64 v[0:1], v[18:19], v[22:23]
	v_mul_f64 v[2:3], v[16:17], v[22:23]
	v_fmac_f64_e32 v[0:1], v[16:17], v[20:21]
	v_fma_f64 v[2:3], v[18:19], v[20:21], -v[2:3]
	ds_write_b128 v85, v[0:3] offset:1152
	s_waitcnt vmcnt(12)
	v_mul_f64 v[0:1], v[30:31], v[26:27]
	v_mul_f64 v[2:3], v[28:29], v[26:27]
	v_fmac_f64_e32 v[0:1], v[28:29], v[24:25]
	v_fma_f64 v[2:3], v[30:31], v[24:25], -v[2:3]
	;; [unrolled: 6-line block ×8, first 2 shown]
	ds_write_b128 v85, v[0:3] offset:5184
.LBB0_3:
	s_or_b64 exec, exec, s[6:7]
	s_load_dwordx2 s[6:7], s[4:5], 0x20
	s_load_dwordx2 s[2:3], s[4:5], 0x8
	s_waitcnt lgkmcnt(0)
	s_barrier
	s_waitcnt lgkmcnt(0)
                                        ; implicit-def: $vgpr0_vgpr1
                                        ; implicit-def: $vgpr4_vgpr5
                                        ; implicit-def: $vgpr8_vgpr9
                                        ; implicit-def: $vgpr16_vgpr17
                                        ; implicit-def: $vgpr28_vgpr29
                                        ; implicit-def: $vgpr36_vgpr37
                                        ; implicit-def: $vgpr40_vgpr41
                                        ; implicit-def: $vgpr44_vgpr45
                                        ; implicit-def: $vgpr48_vgpr49
                                        ; implicit-def: $vgpr52_vgpr53
	s_and_saveexec_b64 s[4:5], s[0:1]
	s_cbranch_execz .LBB0_5
; %bb.4:
	v_lshl_add_u32 v12, v90, 4, v94
	ds_read_b128 v[0:3], v12
	ds_read_b128 v[4:7], v12 offset:576
	ds_read_b128 v[8:11], v12 offset:1152
	;; [unrolled: 1-line block ×9, first 2 shown]
.LBB0_5:
	s_or_b64 exec, exec, s[4:5]
	s_waitcnt lgkmcnt(3)
	v_add_f64 v[12:13], v[28:29], v[40:41]
	s_mov_b32 s4, 0x134454ff
	v_fma_f64 v[58:59], -0.5, v[12:13], v[0:1]
	s_waitcnt lgkmcnt(1)
	v_add_f64 v[12:13], v[10:11], -v[50:51]
	s_mov_b32 s5, 0x3fee6f0e
	s_mov_b32 s8, 0x4755a5e
	;; [unrolled: 1-line block ×4, first 2 shown]
	v_fma_f64 v[56:57], s[4:5], v[12:13], v[58:59]
	v_add_f64 v[14:15], v[30:31], -v[42:43]
	s_mov_b32 s9, 0x3fe2cf23
	v_add_f64 v[20:21], v[8:9], -v[28:29]
	v_add_f64 v[22:23], v[48:49], -v[40:41]
	s_mov_b32 s10, 0x372fe950
	v_fmac_f64_e32 v[58:59], s[16:17], v[12:13]
	s_mov_b32 s19, 0xbfe2cf23
	s_mov_b32 s18, s8
	v_fmac_f64_e32 v[56:57], s[8:9], v[14:15]
	v_add_f64 v[20:21], v[20:21], v[22:23]
	s_mov_b32 s11, 0x3fd3c6ef
	v_fmac_f64_e32 v[58:59], s[18:19], v[14:15]
	v_fmac_f64_e32 v[56:57], s[10:11], v[20:21]
	;; [unrolled: 1-line block ×3, first 2 shown]
	v_add_f64 v[20:21], v[8:9], v[48:49]
	v_fma_f64 v[62:63], -0.5, v[20:21], v[0:1]
	v_fma_f64 v[60:61], s[16:17], v[14:15], v[62:63]
	v_fmac_f64_e32 v[62:63], s[4:5], v[14:15]
	v_fmac_f64_e32 v[60:61], s[8:9], v[12:13]
	v_add_f64 v[20:21], v[28:29], -v[8:9]
	v_add_f64 v[22:23], v[40:41], -v[48:49]
	v_fmac_f64_e32 v[62:63], s[18:19], v[12:13]
	v_add_f64 v[12:13], v[30:31], v[42:43]
	v_add_f64 v[20:21], v[20:21], v[22:23]
	v_fma_f64 v[66:67], -0.5, v[12:13], v[2:3]
	v_add_f64 v[12:13], v[8:9], -v[48:49]
	v_fmac_f64_e32 v[60:61], s[10:11], v[20:21]
	v_fmac_f64_e32 v[62:63], s[10:11], v[20:21]
	v_fma_f64 v[64:65], s[16:17], v[12:13], v[66:67]
	v_add_f64 v[14:15], v[28:29], -v[40:41]
	v_add_f64 v[20:21], v[10:11], -v[30:31]
	;; [unrolled: 1-line block ×3, first 2 shown]
	v_fmac_f64_e32 v[66:67], s[4:5], v[12:13]
	v_fmac_f64_e32 v[64:65], s[18:19], v[14:15]
	v_add_f64 v[20:21], v[20:21], v[22:23]
	v_fmac_f64_e32 v[66:67], s[8:9], v[14:15]
	v_fmac_f64_e32 v[64:65], s[10:11], v[20:21]
	;; [unrolled: 1-line block ×3, first 2 shown]
	v_add_f64 v[20:21], v[10:11], v[50:51]
	v_fma_f64 v[70:71], -0.5, v[20:21], v[2:3]
	v_fma_f64 v[68:69], s[4:5], v[14:15], v[70:71]
	v_fmac_f64_e32 v[70:71], s[16:17], v[14:15]
	v_fmac_f64_e32 v[68:69], s[18:19], v[12:13]
	v_add_f64 v[20:21], v[30:31], -v[10:11]
	v_add_f64 v[22:23], v[42:43], -v[50:51]
	v_fmac_f64_e32 v[70:71], s[8:9], v[12:13]
	v_add_f64 v[12:13], v[36:37], v[44:45]
	v_add_f64 v[20:21], v[20:21], v[22:23]
	v_fma_f64 v[12:13], -0.5, v[12:13], v[4:5]
	s_waitcnt lgkmcnt(0)
	v_add_f64 v[14:15], v[18:19], -v[54:55]
	v_fmac_f64_e32 v[68:69], s[10:11], v[20:21]
	v_fmac_f64_e32 v[70:71], s[10:11], v[20:21]
	v_fma_f64 v[20:21], s[4:5], v[14:15], v[12:13]
	v_add_f64 v[22:23], v[38:39], -v[46:47]
	v_add_f64 v[24:25], v[16:17], -v[36:37]
	;; [unrolled: 1-line block ×3, first 2 shown]
	v_fmac_f64_e32 v[12:13], s[16:17], v[14:15]
	v_fmac_f64_e32 v[20:21], s[8:9], v[22:23]
	v_add_f64 v[24:25], v[24:25], v[26:27]
	v_fmac_f64_e32 v[12:13], s[18:19], v[22:23]
	v_fmac_f64_e32 v[20:21], s[10:11], v[24:25]
	;; [unrolled: 1-line block ×3, first 2 shown]
	v_add_f64 v[24:25], v[16:17], v[52:53]
	v_fma_f64 v[24:25], -0.5, v[24:25], v[4:5]
	v_fma_f64 v[26:27], s[16:17], v[22:23], v[24:25]
	v_fmac_f64_e32 v[24:25], s[4:5], v[22:23]
	v_fmac_f64_e32 v[26:27], s[8:9], v[14:15]
	v_add_f64 v[32:33], v[36:37], -v[16:17]
	v_add_f64 v[34:35], v[44:45], -v[52:53]
	v_fmac_f64_e32 v[24:25], s[18:19], v[14:15]
	v_add_f64 v[14:15], v[38:39], v[46:47]
	v_add_f64 v[32:33], v[32:33], v[34:35]
	v_fma_f64 v[14:15], -0.5, v[14:15], v[6:7]
	v_add_f64 v[22:23], v[16:17], -v[52:53]
	v_fmac_f64_e32 v[26:27], s[10:11], v[32:33]
	v_fmac_f64_e32 v[24:25], s[10:11], v[32:33]
	v_fma_f64 v[32:33], s[16:17], v[22:23], v[14:15]
	v_add_f64 v[34:35], v[36:37], -v[44:45]
	v_add_f64 v[72:73], v[18:19], -v[38:39]
	;; [unrolled: 1-line block ×3, first 2 shown]
	v_fmac_f64_e32 v[14:15], s[4:5], v[22:23]
	v_fmac_f64_e32 v[32:33], s[18:19], v[34:35]
	v_add_f64 v[72:73], v[72:73], v[74:75]
	v_fmac_f64_e32 v[14:15], s[8:9], v[34:35]
	v_fmac_f64_e32 v[32:33], s[10:11], v[72:73]
	v_fmac_f64_e32 v[14:15], s[10:11], v[72:73]
	v_add_f64 v[72:73], v[18:19], v[54:55]
	v_fma_f64 v[84:85], -0.5, v[72:73], v[6:7]
	v_fma_f64 v[86:87], s[4:5], v[34:35], v[84:85]
	v_add_f64 v[72:73], v[38:39], -v[18:19]
	v_add_f64 v[74:75], v[46:47], -v[54:55]
	v_fmac_f64_e32 v[84:85], s[16:17], v[34:35]
	v_add_f64 v[72:73], v[72:73], v[74:75]
	v_fmac_f64_e32 v[84:85], s[8:9], v[22:23]
	s_mov_b32 s20, 0x9b97f4a8
	v_fmac_f64_e32 v[86:87], s[18:19], v[22:23]
	v_fmac_f64_e32 v[84:85], s[10:11], v[72:73]
	s_mov_b32 s21, 0x3fe9e377
	v_mul_f64 v[22:23], v[24:25], s[10:11]
	v_fmac_f64_e32 v[86:87], s[10:11], v[72:73]
	v_fma_f64 v[76:77], v[84:85], s[4:5], -v[22:23]
	v_mul_f64 v[22:23], v[12:13], s[20:21]
	v_mul_f64 v[72:73], v[20:21], s[20:21]
	;; [unrolled: 1-line block ×3, first 2 shown]
	v_fma_f64 v[78:79], v[14:15], s[8:9], -v[22:23]
	v_mul_f64 v[80:81], v[20:21], s[18:19]
	v_mul_f64 v[82:83], v[26:27], s[16:17]
	;; [unrolled: 1-line block ×4, first 2 shown]
	v_fmac_f64_e32 v[72:73], s[8:9], v[32:33]
	v_fmac_f64_e32 v[74:75], s[10:11], v[26:27]
	v_fmac_f64_e32 v[80:81], s[20:21], v[32:33]
	v_fmac_f64_e32 v[82:83], s[10:11], v[86:87]
	v_fma_f64 v[84:85], v[24:25], s[16:17], -v[20:21]
	v_fma_f64 v[86:87], v[12:13], s[18:19], -v[14:15]
	v_add_f64 v[12:13], v[56:57], -v[72:73]
	v_add_f64 v[20:21], v[60:61], -v[74:75]
	;; [unrolled: 1-line block ×8, first 2 shown]
	v_mul_lo_u16_e32 v98, 10, v89
	s_barrier
	s_and_saveexec_b64 s[4:5], s[0:1]
	s_cbranch_execz .LBB0_7
; %bb.6:
	v_add_f64 v[2:3], v[2:3], v[10:11]
	v_add_f64 v[0:1], v[0:1], v[8:9]
	;; [unrolled: 1-line block ×16, first 2 shown]
	v_add_f64 v[2:3], v[42:43], -v[38:39]
	v_add_f64 v[0:1], v[40:41], -v[36:37]
	v_add_f64 v[38:39], v[42:43], v[38:39]
	v_add_f64 v[36:37], v[40:41], v[36:37]
	v_add_lshl_u32 v40, v90, v98, 4
	v_add_f64 v[6:7], v[66:67], v[86:87]
	v_add_f64 v[10:11], v[70:71], v[84:85]
	;; [unrolled: 1-line block ×8, first 2 shown]
	ds_write_b128 v40, v[36:39]
	ds_write_b128 v40, v[28:31] offset:16
	ds_write_b128 v40, v[16:19] offset:32
	;; [unrolled: 1-line block ×9, first 2 shown]
.LBB0_7:
	s_or_b64 exec, exec, s[4:5]
	s_movk_i32 s8, 0xcd
	v_mul_lo_u16_sdwa v0, v89, s8 dst_sel:DWORD dst_unused:UNUSED_PAD src0_sel:BYTE_0 src1_sel:DWORD
	v_lshrrev_b16_e32 v82, 11, v0
	v_mul_lo_u16_e32 v0, 10, v82
	v_sub_u16_e32 v0, v89, v0
	v_and_b32_e32 v83, 0xff, v0
	s_movk_i32 s10, 0x50
	v_pk_mov_b32 v[36:37], s[2:3], s[2:3] op_sel:[0,1]
	v_mad_u64_u32 v[38:39], s[2:3], v83, s10, v[36:37]
	s_load_dwordx4 s[4:7], s[6:7], 0x0
	s_waitcnt lgkmcnt(0)
	s_barrier
	global_load_dwordx4 v[16:19], v[38:39], off
	global_load_dwordx4 v[8:11], v[38:39], off offset:16
	global_load_dwordx4 v[4:7], v[38:39], off offset:32
	;; [unrolled: 1-line block ×4, first 2 shown]
	v_add_lshl_u32 v97, v90, v89, 4
	ds_read_b128 v[38:41], v97
	ds_read_b128 v[42:45], v97 offset:960
	ds_read_b128 v[46:49], v97 offset:1920
	;; [unrolled: 1-line block ×5, first 2 shown]
	s_mov_b32 s8, 0xe8584caa
	s_mov_b32 s9, 0x3febb67a
	;; [unrolled: 1-line block ×4, first 2 shown]
	s_waitcnt lgkmcnt(0)
	s_barrier
	v_lshl_add_u32 v96, v89, 4, v95
	s_waitcnt vmcnt(4)
	v_mul_f64 v[64:65], v[42:43], v[18:19]
	s_waitcnt vmcnt(3)
	v_mul_f64 v[68:69], v[46:47], v[10:11]
	;; [unrolled: 2-line block ×5, first 2 shown]
	v_mul_f64 v[62:63], v[44:45], v[18:19]
	v_mul_f64 v[66:67], v[48:49], v[10:11]
	v_mul_f64 v[70:71], v[52:53], v[6:7]
	v_mul_f64 v[74:75], v[56:57], v[2:3]
	v_mul_f64 v[78:79], v[60:61], v[30:31]
	v_fmac_f64_e32 v[64:65], v[44:45], v[16:17]
	v_fmac_f64_e32 v[68:69], v[48:49], v[8:9]
	;; [unrolled: 1-line block ×5, first 2 shown]
	v_fma_f64 v[62:63], v[42:43], v[16:17], -v[62:63]
	v_fma_f64 v[42:43], v[46:47], v[8:9], -v[66:67]
	;; [unrolled: 1-line block ×5, first 2 shown]
	v_add_f64 v[54:55], v[68:69], -v[76:77]
	v_add_f64 v[56:57], v[40:41], v[68:69]
	v_add_f64 v[58:59], v[68:69], v[76:77]
	v_add_f64 v[68:69], v[72:73], -v[80:81]
	v_add_f64 v[70:71], v[64:65], v[72:73]
	v_add_f64 v[72:73], v[72:73], v[80:81]
	;; [unrolled: 1-line block ×5, first 2 shown]
	v_add_f64 v[44:45], v[44:45], -v[48:49]
	v_fmac_f64_e32 v[64:65], -0.5, v[72:73]
	v_add_f64 v[50:51], v[38:39], v[42:43]
	v_fmac_f64_e32 v[38:39], -0.5, v[52:53]
	v_fmac_f64_e32 v[62:63], -0.5, v[66:67]
	v_fma_f64 v[52:53], s[2:3], v[44:45], v[64:65]
	v_fmac_f64_e32 v[64:65], s[8:9], v[44:45]
	v_add_f64 v[42:43], v[42:43], -v[46:47]
	v_add_f64 v[46:47], v[50:51], v[46:47]
	v_fma_f64 v[50:51], s[8:9], v[68:69], v[62:63]
	v_fmac_f64_e32 v[62:63], s[2:3], v[68:69]
	v_mul_f64 v[72:73], v[64:65], -0.5
	v_fmac_f64_e32 v[40:41], -0.5, v[58:59]
	v_add_f64 v[48:49], v[60:61], v[48:49]
	v_mul_f64 v[68:69], v[62:63], -0.5
	v_fmac_f64_e32 v[72:73], s[2:3], v[62:63]
	v_mul_u32_u24_e32 v62, 60, v82
	v_add_f64 v[74:75], v[56:57], v[76:77]
	v_add_f64 v[60:61], v[70:71], v[80:81]
	v_fma_f64 v[66:67], s[2:3], v[42:43], v[40:41]
	v_fmac_f64_e32 v[40:41], s[8:9], v[42:43]
	v_add_f64 v[42:43], v[46:47], v[48:49]
	v_add_f64 v[46:47], v[46:47], -v[48:49]
	v_mul_f64 v[48:49], v[52:53], s[8:9]
	v_mul_f64 v[70:71], v[50:51], s[2:3]
	v_add_u32_e32 v62, v62, v83
	v_fma_f64 v[58:59], s[8:9], v[54:55], v[38:39]
	v_fmac_f64_e32 v[38:39], s[2:3], v[54:55]
	v_add_f64 v[44:45], v[74:75], v[60:61]
	v_fmac_f64_e32 v[48:49], 0.5, v[50:51]
	v_fmac_f64_e32 v[68:69], s[8:9], v[64:65]
	v_fmac_f64_e32 v[70:71], 0.5, v[52:53]
	v_add_f64 v[56:57], v[40:41], v[72:73]
	v_add_lshl_u32 v99, v90, v62, 4
	v_add_f64 v[50:51], v[58:59], v[48:49]
	v_add_f64 v[54:55], v[38:39], v[68:69]
	;; [unrolled: 1-line block ×3, first 2 shown]
	v_add_f64 v[58:59], v[58:59], -v[48:49]
	v_add_f64 v[38:39], v[38:39], -v[68:69]
	;; [unrolled: 1-line block ×5, first 2 shown]
	ds_write_b128 v99, v[42:45]
	ds_write_b128 v99, v[50:53] offset:160
	ds_write_b128 v99, v[54:57] offset:320
	;; [unrolled: 1-line block ×5, first 2 shown]
	v_mad_u64_u32 v[56:57], s[10:11], v89, s10, v[36:37]
	s_waitcnt lgkmcnt(0)
	s_barrier
	global_load_dwordx4 v[48:51], v[56:57], off offset:800
	global_load_dwordx4 v[44:47], v[56:57], off offset:816
	;; [unrolled: 1-line block ×5, first 2 shown]
	ds_read_b128 v[76:79], v97
	ds_read_b128 v[56:59], v97 offset:960
	ds_read_b128 v[60:63], v97 offset:1920
	;; [unrolled: 1-line block ×5, first 2 shown]
	s_waitcnt vmcnt(4) lgkmcnt(4)
	v_mul_f64 v[82:83], v[56:57], v[50:51]
	s_waitcnt vmcnt(3) lgkmcnt(3)
	v_mul_f64 v[86:87], v[60:61], v[46:47]
	;; [unrolled: 2-line block ×3, first 2 shown]
	v_mul_f64 v[80:81], v[58:59], v[50:51]
	s_waitcnt vmcnt(0) lgkmcnt(0)
	v_mul_f64 v[104:105], v[74:75], v[54:55]
	v_mul_f64 v[84:85], v[62:63], v[46:47]
	;; [unrolled: 1-line block ×5, first 2 shown]
	v_fmac_f64_e32 v[82:83], v[58:59], v[48:49]
	v_fmac_f64_e32 v[86:87], v[62:63], v[44:45]
	v_fma_f64 v[58:59], v[64:65], v[40:41], -v[90:91]
	v_fma_f64 v[62:63], v[72:73], v[52:53], -v[104:105]
	v_mul_f64 v[100:101], v[70:71], v[38:39]
	v_fma_f64 v[80:81], v[56:57], v[48:49], -v[80:81]
	v_fma_f64 v[56:57], v[60:61], v[44:45], -v[84:85]
	v_fmac_f64_e32 v[92:93], v[66:67], v[40:41]
	v_fmac_f64_e32 v[102:103], v[70:71], v[36:37]
	;; [unrolled: 1-line block ×3, first 2 shown]
	v_add_f64 v[84:85], v[58:59], v[62:63]
	v_fma_f64 v[60:61], v[68:69], v[36:37], -v[100:101]
	v_add_f64 v[64:65], v[76:77], v[56:57]
	v_add_f64 v[68:69], v[86:87], -v[102:103]
	v_add_f64 v[70:71], v[78:79], v[86:87]
	v_add_f64 v[72:73], v[86:87], v[102:103]
	;; [unrolled: 1-line block ×3, first 2 shown]
	v_add_f64 v[86:87], v[92:93], -v[106:107]
	v_add_f64 v[90:91], v[82:83], v[92:93]
	v_add_f64 v[92:93], v[92:93], v[106:107]
	v_fmac_f64_e32 v[80:81], -0.5, v[84:85]
	v_add_f64 v[66:67], v[56:57], v[60:61]
	v_add_f64 v[56:57], v[56:57], -v[60:61]
	v_add_f64 v[58:59], v[58:59], -v[62:63]
	v_add_f64 v[100:101], v[64:65], v[60:61]
	v_fmac_f64_e32 v[82:83], -0.5, v[92:93]
	v_fma_f64 v[60:61], s[8:9], v[86:87], v[80:81]
	v_fmac_f64_e32 v[80:81], s[2:3], v[86:87]
	v_fmac_f64_e32 v[78:79], -0.5, v[72:73]
	v_add_f64 v[72:73], v[74:75], v[62:63]
	v_fma_f64 v[62:63], s[2:3], v[58:59], v[82:83]
	v_fmac_f64_e32 v[82:83], s[8:9], v[58:59]
	v_mul_f64 v[92:93], v[80:81], -0.5
	v_fmac_f64_e32 v[76:77], -0.5, v[66:67]
	v_add_f64 v[70:71], v[70:71], v[102:103]
	v_mul_f64 v[86:87], v[62:63], s[8:9]
	v_mul_f64 v[102:103], v[60:61], s[2:3]
	v_fmac_f64_e32 v[92:93], s[8:9], v[82:83]
	v_mul_f64 v[82:83], v[82:83], -0.5
	v_add_f64 v[74:75], v[90:91], v[106:107]
	v_fma_f64 v[84:85], s[8:9], v[68:69], v[76:77]
	v_fmac_f64_e32 v[76:77], s[2:3], v[68:69]
	v_fma_f64 v[90:91], s[2:3], v[56:57], v[78:79]
	v_fmac_f64_e32 v[78:79], s[8:9], v[56:57]
	v_fmac_f64_e32 v[86:87], 0.5, v[60:61]
	v_fmac_f64_e32 v[102:103], 0.5, v[62:63]
	v_fmac_f64_e32 v[82:83], s[2:3], v[80:81]
	v_add_f64 v[56:57], v[100:101], v[72:73]
	v_add_f64 v[58:59], v[70:71], v[74:75]
	v_add_f64 v[60:61], v[84:85], v[86:87]
	v_add_f64 v[64:65], v[76:77], v[92:93]
	v_add_f64 v[62:63], v[90:91], v[102:103]
	v_add_f64 v[66:67], v[78:79], v[82:83]
	v_add_f64 v[68:69], v[100:101], -v[72:73]
	v_add_f64 v[72:73], v[84:85], -v[86:87]
	v_add_f64 v[76:77], v[76:77], -v[92:93]
	v_add_f64 v[70:71], v[70:71], -v[74:75]
	v_add_f64 v[74:75], v[90:91], -v[102:103]
	v_add_f64 v[78:79], v[78:79], -v[82:83]
	ds_write_b128 v96, v[56:59]
	ds_write_b128 v96, v[60:63] offset:960
	ds_write_b128 v96, v[64:67] offset:1920
	;; [unrolled: 1-line block ×5, first 2 shown]
	s_waitcnt lgkmcnt(0)
	s_barrier
	s_and_saveexec_b64 s[8:9], s[0:1]
	s_cbranch_execz .LBB0_9
; %bb.8:
	v_mov_b32_e32 v80, s15
	v_add_co_u32_e32 v93, vcc, s14, v94
	v_addc_co_u32_e32 v122, vcc, 0, v80, vcc
	v_add_co_u32_e32 v90, vcc, 0x1680, v93
	v_addc_co_u32_e32 v91, vcc, 0, v122, vcc
	s_movk_i32 s2, 0x2000
	v_add_co_u32_e32 v92, vcc, 0x1000, v93
	v_add_co_u32_e64 v120, s[2:3], s2, v93
	v_addc_co_u32_e64 v121, s[2:3], 0, v122, s[2:3]
	v_addc_co_u32_e32 v93, vcc, 0, v122, vcc
	global_load_dwordx4 v[80:83], v[90:91], off offset:576
	global_load_dwordx4 v[84:87], v[90:91], off offset:1152
	;; [unrolled: 1-line block ×7, first 2 shown]
	s_nop 0
	global_load_dwordx4 v[120:123], v[120:121], off offset:2752
	s_nop 0
	global_load_dwordx4 v[124:127], v[92:93], off offset:1664
	;; [unrolled: 2-line block ×3, first 2 shown]
	ds_read_b128 v[128:131], v96
	ds_read_b128 v[132:135], v96 offset:576
	ds_read_b128 v[136:139], v96 offset:1152
	;; [unrolled: 1-line block ×9, first 2 shown]
	s_waitcnt vmcnt(9) lgkmcnt(8)
	v_mul_f64 v[170:171], v[132:133], v[82:83]
	v_mul_f64 v[168:169], v[134:135], v[82:83]
	s_waitcnt vmcnt(8) lgkmcnt(7)
	v_mul_f64 v[172:173], v[138:139], v[86:87]
	v_mul_f64 v[82:83], v[136:137], v[86:87]
	;; [unrolled: 3-line block ×7, first 2 shown]
	s_waitcnt vmcnt(1)
	v_mul_f64 v[186:187], v[130:131], v[126:127]
	v_mul_f64 v[118:119], v[128:129], v[126:127]
	v_fmac_f64_e32 v[170:171], v[134:135], v[80:81]
	s_waitcnt vmcnt(0)
	v_mul_f64 v[134:135], v[158:159], v[92:93]
	s_waitcnt lgkmcnt(0)
	v_mul_f64 v[184:185], v[166:167], v[122:123]
	v_fma_f64 v[168:169], v[132:133], v[80:81], -v[168:169]
	v_fma_f64 v[80:81], v[136:137], v[84:85], -v[172:173]
	v_fmac_f64_e32 v[82:83], v[138:139], v[84:85]
	v_fma_f64 v[84:85], v[140:141], v[100:101], -v[174:175]
	v_fmac_f64_e32 v[86:87], v[142:143], v[100:101]
	;; [unrolled: 2-line block ×7, first 2 shown]
	v_fma_f64 v[124:125], v[156:157], v[90:91], -v[134:135]
	v_mul_f64 v[134:135], v[164:165], v[122:123]
	v_mul_f64 v[126:127], v[156:157], v[92:93]
	v_fma_f64 v[132:133], v[164:165], v[120:121], -v[184:185]
	v_fmac_f64_e32 v[134:135], v[166:167], v[120:121]
	ds_write_b128 v96, v[168:171] offset:576
	ds_write_b128 v96, v[80:83] offset:1152
	;; [unrolled: 1-line block ×6, first 2 shown]
	v_fmac_f64_e32 v[126:127], v[158:159], v[90:91]
	ds_write_b128 v96, v[112:115] offset:4608
	ds_write_b128 v96, v[116:119]
	ds_write_b128 v96, v[124:127] offset:4032
	ds_write_b128 v96, v[132:135] offset:5184
.LBB0_9:
	s_or_b64 exec, exec, s[8:9]
	s_waitcnt lgkmcnt(0)
	s_barrier
	s_and_saveexec_b64 s[2:3], s[0:1]
	s_cbranch_execz .LBB0_11
; %bb.10:
	ds_read_b128 v[56:59], v96
	ds_read_b128 v[60:63], v96 offset:576
	ds_read_b128 v[64:67], v96 offset:1152
	;; [unrolled: 1-line block ×9, first 2 shown]
.LBB0_11:
	s_or_b64 exec, exec, s[2:3]
	s_waitcnt lgkmcnt(0)
	s_barrier
	s_and_saveexec_b64 s[2:3], s[0:1]
	s_cbranch_execz .LBB0_13
; %bb.12:
	v_add_f64 v[80:81], v[66:67], -v[74:75]
	v_add_f64 v[82:83], v[26:27], -v[14:15]
	v_add_f64 v[82:83], v[80:81], v[82:83]
	v_add_f64 v[80:81], v[74:75], v[14:15]
	v_fma_f64 v[86:87], -0.5, v[80:81], v[58:59]
	v_add_f64 v[80:81], v[68:69], -v[76:77]
	v_add_f64 v[84:85], v[32:33], -v[20:21]
	v_add_f64 v[102:103], v[80:81], v[84:85]
	v_add_f64 v[80:81], v[76:77], v[20:21]
	v_fma_f64 v[106:107], -0.5, v[80:81], v[60:61]
	v_add_f64 v[80:81], v[70:71], -v[78:79]
	v_add_f64 v[84:85], v[34:35], -v[22:23]
	v_add_f64 v[114:115], v[80:81], v[84:85]
	v_add_f64 v[84:85], v[74:75], -v[66:67]
	v_add_f64 v[92:93], v[14:15], -v[26:27]
	v_add_f64 v[92:93], v[84:85], v[92:93]
	v_add_f64 v[84:85], v[66:67], v[26:27]
	s_mov_b32 s8, 0x134454ff
	v_fma_f64 v[126:127], -0.5, v[84:85], v[58:59]
	v_add_f64 v[84:85], v[76:77], -v[68:69]
	v_add_f64 v[130:131], v[20:21], -v[32:33]
	v_add_f64 v[58:59], v[58:59], v[66:67]
	s_mov_b32 s9, 0xbfee6f0e
	s_mov_b32 s10, 0x4755a5e
	v_add_f64 v[108:109], v[70:71], -v[34:35]
	s_mov_b32 s19, 0x3fee6f0e
	s_mov_b32 s18, s8
	v_add_f64 v[130:131], v[84:85], v[130:131]
	v_add_f64 v[84:85], v[68:69], v[32:33]
	;; [unrolled: 1-line block ×3, first 2 shown]
	s_mov_b32 s11, 0xbfe2cf23
	v_fma_f64 v[110:111], s[18:19], v[108:109], v[106:107]
	v_add_f64 v[112:113], v[78:79], -v[22:23]
	s_mov_b32 s21, 0x3fe2cf23
	s_mov_b32 s20, s10
	v_fma_f64 v[132:133], -0.5, v[84:85], v[60:61]
	v_fmac_f64_e32 v[106:107], s[8:9], v[108:109]
	v_add_f64 v[58:59], v[58:59], v[14:15]
	v_fmac_f64_e32 v[110:111], s[20:21], v[112:113]
	v_fma_f64 v[134:135], s[8:9], v[112:113], v[132:133]
	v_fmac_f64_e32 v[132:133], s[18:19], v[112:113]
	v_fmac_f64_e32 v[106:107], s[10:11], v[112:113]
	v_add_f64 v[112:113], v[58:59], v[26:27]
	v_add_f64 v[58:59], v[62:63], v[70:71]
	;; [unrolled: 1-line block ×3, first 2 shown]
	v_add_f64 v[84:85], v[78:79], -v[70:71]
	v_add_f64 v[136:137], v[22:23], -v[34:35]
	v_add_f64 v[58:59], v[58:59], v[78:79]
	v_add_f64 v[90:91], v[64:65], -v[24:25]
	v_fma_f64 v[116:117], -0.5, v[80:81], v[62:63]
	v_add_f64 v[118:119], v[68:69], -v[32:33]
	v_add_f64 v[136:137], v[84:85], v[136:137]
	v_add_f64 v[84:85], v[70:71], v[34:35]
	;; [unrolled: 1-line block ×3, first 2 shown]
	v_fma_f64 v[104:105], s[8:9], v[90:91], v[86:87]
	v_add_f64 v[100:101], v[72:73], -v[12:13]
	s_mov_b32 s16, 0x372fe950
	v_fma_f64 v[120:121], s[8:9], v[118:119], v[116:117]
	v_add_f64 v[122:123], v[76:77], -v[20:21]
	v_fma_f64 v[138:139], -0.5, v[84:85], v[62:63]
	v_fmac_f64_e32 v[86:87], s[18:19], v[90:91]
	v_add_f64 v[62:63], v[22:23], v[34:35]
	v_add_f64 v[34:35], v[64:65], -v[72:73]
	v_add_f64 v[58:59], v[24:25], -v[12:13]
	v_fmac_f64_e32 v[104:105], s[10:11], v[100:101]
	s_mov_b32 s17, 0x3fd3c6ef
	v_fmac_f64_e32 v[120:121], s[10:11], v[122:123]
	s_mov_b32 s22, 0x9b97f4a8
	v_fmac_f64_e32 v[86:87], s[20:21], v[100:101]
	v_add_f64 v[34:35], v[34:35], v[58:59]
	v_add_f64 v[58:59], v[72:73], v[12:13]
	v_fmac_f64_e32 v[104:105], s[16:17], v[82:83]
	v_fmac_f64_e32 v[120:121], s[16:17], v[114:115]
	s_mov_b32 s23, 0xbfe9e377
	v_fmac_f64_e32 v[86:87], s[16:17], v[82:83]
	v_fma_f64 v[70:71], -0.5, v[58:59], v[56:57]
	v_add_f64 v[58:59], v[72:73], -v[64:65]
	v_add_f64 v[82:83], v[12:13], -v[24:25]
	v_fmac_f64_e32 v[110:111], s[16:17], v[102:103]
	v_mul_f64 v[124:125], v[120:121], s[22:23]
	v_fmac_f64_e32 v[116:117], s[18:19], v[118:119]
	v_add_f64 v[26:27], v[66:67], -v[26:27]
	v_add_f64 v[14:15], v[74:75], -v[14:15]
	v_mul_f64 v[74:75], v[120:121], s[10:11]
	v_add_f64 v[58:59], v[58:59], v[82:83]
	v_add_f64 v[82:83], v[64:65], v[24:25]
	v_fmac_f64_e32 v[124:125], s[20:21], v[110:111]
	v_fmac_f64_e32 v[116:117], s[20:21], v[122:123]
	v_fma_f64 v[66:67], s[18:19], v[26:27], v[70:71]
	v_fmac_f64_e32 v[74:75], s[22:23], v[110:111]
	v_fma_f64 v[110:111], -0.5, v[82:83], v[56:57]
	v_fmac_f64_e32 v[70:71], s[8:9], v[26:27]
	v_fmac_f64_e32 v[116:117], s[16:17], v[114:115]
	;; [unrolled: 1-line block ×3, first 2 shown]
	v_fma_f64 v[114:115], s[8:9], v[14:15], v[110:111]
	v_fmac_f64_e32 v[110:111], s[18:19], v[14:15]
	v_fmac_f64_e32 v[70:71], s[10:11], v[14:15]
	v_add_f64 v[14:15], v[56:57], v[64:65]
	v_add_f64 v[14:15], v[14:15], v[72:73]
	;; [unrolled: 1-line block ×3, first 2 shown]
	v_fma_f64 v[140:141], s[18:19], v[122:123], v[138:139]
	v_fmac_f64_e32 v[138:139], s[8:9], v[122:123]
	v_add_f64 v[64:65], v[12:13], v[24:25]
	v_add_f64 v[12:13], v[60:61], v[68:69]
	v_fmac_f64_e32 v[140:141], s[10:11], v[118:119]
	v_fmac_f64_e32 v[138:139], s[20:21], v[118:119]
	;; [unrolled: 1-line block ×3, first 2 shown]
	v_add_f64 v[12:13], v[12:13], v[76:77]
	v_fma_f64 v[128:129], s[18:19], v[100:101], v[126:127]
	v_fmac_f64_e32 v[134:135], s[20:21], v[108:109]
	v_fmac_f64_e32 v[140:141], s[16:17], v[136:137]
	s_mov_b32 s25, 0xbfd3c6ef
	s_mov_b32 s24, s16
	v_fmac_f64_e32 v[126:127], s[8:9], v[100:101]
	v_fmac_f64_e32 v[132:133], s[10:11], v[108:109]
	;; [unrolled: 1-line block ×3, first 2 shown]
	v_mul_f64 v[108:109], v[106:107], s[20:21]
	s_mov_b32 s27, 0x3fe9e377
	s_mov_b32 s26, s22
	v_add_f64 v[12:13], v[12:13], v[20:21]
	v_fmac_f64_e32 v[128:129], s[10:11], v[90:91]
	v_fmac_f64_e32 v[134:135], s[16:17], v[130:131]
	v_mul_f64 v[142:143], v[140:141], s[24:25]
	v_fmac_f64_e32 v[126:127], s[20:21], v[90:91]
	v_fmac_f64_e32 v[132:133], s[16:17], v[130:131]
	v_mul_f64 v[130:131], v[138:139], s[16:17]
	;; [unrolled: 3-line block ×3, first 2 shown]
	v_fmac_f64_e32 v[110:111], s[10:11], v[26:27]
	v_mul_f64 v[120:121], v[138:139], s[8:9]
	v_mul_f64 v[116:117], v[116:117], s[10:11]
	v_add_f64 v[60:61], v[12:13], v[32:33]
	v_fmac_f64_e32 v[128:129], s[16:17], v[92:93]
	v_fmac_f64_e32 v[142:143], s[18:19], v[134:135]
	;; [unrolled: 1-line block ×4, first 2 shown]
	v_add_f64 v[22:23], v[112:113], -v[62:63]
	v_fmac_f64_e32 v[66:67], s[16:17], v[34:35]
	v_fmac_f64_e32 v[114:115], s[16:17], v[58:59]
	;; [unrolled: 1-line block ×7, first 2 shown]
	v_add_f64 v[20:21], v[64:65], -v[60:61]
	v_add_f64 v[62:63], v[112:113], v[62:63]
	v_add_f64 v[60:61], v[64:65], v[60:61]
	v_lshl_add_u32 v64, v98, 4, v95
	v_add_f64 v[80:81], v[104:105], -v[124:125]
	v_add_f64 v[84:85], v[128:129], -v[142:143]
	;; [unrolled: 1-line block ×8, first 2 shown]
	v_add_f64 v[14:15], v[104:105], v[124:125]
	v_add_f64 v[26:27], v[128:129], v[142:143]
	;; [unrolled: 1-line block ×8, first 2 shown]
	ds_write_b128 v64, v[60:63]
	ds_write_b128 v64, v[56:59] offset:16
	ds_write_b128 v64, v[32:35] offset:32
	;; [unrolled: 1-line block ×9, first 2 shown]
.LBB0_13:
	s_or_b64 exec, exec, s[2:3]
	s_waitcnt lgkmcnt(0)
	s_barrier
	ds_read_b128 v[12:15], v97
	ds_read_b128 v[20:23], v97 offset:960
	ds_read_b128 v[24:27], v97 offset:1920
	;; [unrolled: 1-line block ×5, first 2 shown]
	s_waitcnt lgkmcnt(4)
	v_mul_f64 v[64:65], v[18:19], v[22:23]
	v_mul_f64 v[18:19], v[18:19], v[20:21]
	v_fmac_f64_e32 v[64:65], v[16:17], v[20:21]
	v_fma_f64 v[16:17], v[16:17], v[22:23], -v[18:19]
	s_waitcnt lgkmcnt(3)
	v_mul_f64 v[18:19], v[10:11], v[26:27]
	v_mul_f64 v[10:11], v[10:11], v[24:25]
	v_fmac_f64_e32 v[18:19], v[8:9], v[24:25]
	v_fma_f64 v[8:9], v[8:9], v[26:27], -v[10:11]
	s_waitcnt lgkmcnt(2)
	v_mul_f64 v[10:11], v[6:7], v[34:35]
	v_mul_f64 v[6:7], v[6:7], v[32:33]
	v_fmac_f64_e32 v[10:11], v[4:5], v[32:33]
	v_fma_f64 v[4:5], v[4:5], v[34:35], -v[6:7]
	s_waitcnt lgkmcnt(1)
	v_mul_f64 v[6:7], v[2:3], v[58:59]
	v_fmac_f64_e32 v[6:7], v[0:1], v[56:57]
	v_mul_f64 v[2:3], v[2:3], v[56:57]
	v_fma_f64 v[0:1], v[0:1], v[58:59], -v[2:3]
	v_add_f64 v[24:25], v[18:19], v[6:7]
	s_mov_b32 s8, 0xe8584caa
	v_add_f64 v[22:23], v[12:13], v[18:19]
	v_fmac_f64_e32 v[12:13], -0.5, v[24:25]
	v_add_f64 v[24:25], v[8:9], -v[0:1]
	s_mov_b32 s9, 0xbfebb67a
	s_mov_b32 s3, 0x3febb67a
	;; [unrolled: 1-line block ×3, first 2 shown]
	v_fma_f64 v[26:27], s[8:9], v[24:25], v[12:13]
	v_fmac_f64_e32 v[12:13], s[2:3], v[24:25]
	v_add_f64 v[24:25], v[14:15], v[8:9]
	v_add_f64 v[24:25], v[24:25], v[0:1]
	;; [unrolled: 1-line block ×3, first 2 shown]
	s_waitcnt lgkmcnt(0)
	v_mul_f64 v[2:3], v[30:31], v[62:63]
	v_mul_f64 v[20:21], v[30:31], v[60:61]
	v_fmac_f64_e32 v[14:15], -0.5, v[0:1]
	v_add_f64 v[0:1], v[18:19], -v[6:7]
	v_fmac_f64_e32 v[2:3], v[28:29], v[60:61]
	v_fma_f64 v[20:21], v[28:29], v[62:63], -v[20:21]
	v_fma_f64 v[28:29], s[2:3], v[0:1], v[14:15]
	v_fmac_f64_e32 v[14:15], s[8:9], v[0:1]
	v_add_f64 v[0:1], v[64:65], v[10:11]
	v_add_f64 v[18:19], v[0:1], v[2:3]
	;; [unrolled: 1-line block ×3, first 2 shown]
	v_fmac_f64_e32 v[64:65], -0.5, v[0:1]
	v_add_f64 v[0:1], v[4:5], -v[20:21]
	v_add_f64 v[22:23], v[22:23], v[6:7]
	v_fma_f64 v[6:7], s[8:9], v[0:1], v[64:65]
	v_fmac_f64_e32 v[64:65], s[2:3], v[0:1]
	v_add_f64 v[0:1], v[16:17], v[4:5]
	v_add_f64 v[30:31], v[0:1], v[20:21]
	;; [unrolled: 1-line block ×3, first 2 shown]
	v_fmac_f64_e32 v[16:17], -0.5, v[0:1]
	v_add_f64 v[0:1], v[10:11], -v[2:3]
	v_fma_f64 v[10:11], s[2:3], v[0:1], v[16:17]
	v_fmac_f64_e32 v[16:17], s[8:9], v[0:1]
	v_mul_f64 v[20:21], v[10:11], s[8:9]
	v_mul_f64 v[32:33], v[16:17], s[8:9]
	v_mul_f64 v[34:35], v[10:11], 0.5
	v_mul_f64 v[56:57], v[16:17], -0.5
	v_fmac_f64_e32 v[20:21], 0.5, v[6:7]
	v_fmac_f64_e32 v[32:33], -0.5, v[64:65]
	v_fmac_f64_e32 v[34:35], s[2:3], v[6:7]
	v_fmac_f64_e32 v[56:57], s[2:3], v[64:65]
	v_add_f64 v[0:1], v[22:23], v[18:19]
	v_add_f64 v[4:5], v[26:27], v[20:21]
	;; [unrolled: 1-line block ×6, first 2 shown]
	v_add_f64 v[16:17], v[22:23], -v[18:19]
	v_add_f64 v[20:21], v[26:27], -v[20:21]
	;; [unrolled: 1-line block ×6, first 2 shown]
	s_barrier
	ds_write_b128 v99, v[0:3]
	ds_write_b128 v99, v[4:7] offset:160
	ds_write_b128 v99, v[8:11] offset:320
	;; [unrolled: 1-line block ×5, first 2 shown]
	s_waitcnt lgkmcnt(0)
	s_barrier
	ds_read_b128 v[0:3], v97
	ds_read_b128 v[4:7], v97 offset:960
	ds_read_b128 v[8:11], v97 offset:1920
	;; [unrolled: 1-line block ×5, first 2 shown]
	s_waitcnt lgkmcnt(4)
	v_mul_f64 v[24:25], v[50:51], v[6:7]
	v_fmac_f64_e32 v[24:25], v[48:49], v[4:5]
	v_mul_f64 v[4:5], v[50:51], v[4:5]
	v_fma_f64 v[26:27], v[48:49], v[6:7], -v[4:5]
	s_waitcnt lgkmcnt(3)
	v_mul_f64 v[4:5], v[46:47], v[10:11]
	v_mul_f64 v[6:7], v[46:47], v[8:9]
	v_fmac_f64_e32 v[4:5], v[44:45], v[8:9]
	v_fma_f64 v[6:7], v[44:45], v[10:11], -v[6:7]
	s_waitcnt lgkmcnt(2)
	v_mul_f64 v[8:9], v[42:43], v[14:15]
	v_mul_f64 v[10:11], v[42:43], v[12:13]
	v_fmac_f64_e32 v[8:9], v[40:41], v[12:13]
	;; [unrolled: 5-line block ×3, first 2 shown]
	v_fma_f64 v[14:15], v[36:37], v[18:19], -v[14:15]
	s_waitcnt lgkmcnt(0)
	v_mul_f64 v[18:19], v[54:55], v[20:21]
	v_mul_f64 v[16:17], v[54:55], v[22:23]
	v_fma_f64 v[18:19], v[52:53], v[22:23], -v[18:19]
	v_add_f64 v[22:23], v[4:5], v[12:13]
	v_fmac_f64_e32 v[16:17], v[52:53], v[20:21]
	v_add_f64 v[20:21], v[0:1], v[4:5]
	v_fmac_f64_e32 v[0:1], -0.5, v[22:23]
	v_add_f64 v[22:23], v[6:7], -v[14:15]
	v_fma_f64 v[28:29], s[8:9], v[22:23], v[0:1]
	v_fmac_f64_e32 v[0:1], s[2:3], v[22:23]
	v_add_f64 v[22:23], v[2:3], v[6:7]
	v_add_f64 v[6:7], v[6:7], v[14:15]
	v_fmac_f64_e32 v[2:3], -0.5, v[6:7]
	v_add_f64 v[4:5], v[4:5], -v[12:13]
	v_fma_f64 v[30:31], s[2:3], v[4:5], v[2:3]
	v_fmac_f64_e32 v[2:3], s[8:9], v[4:5]
	v_add_f64 v[4:5], v[24:25], v[8:9]
	v_add_f64 v[32:33], v[4:5], v[16:17]
	;; [unrolled: 1-line block ×3, first 2 shown]
	v_fmac_f64_e32 v[24:25], -0.5, v[4:5]
	v_add_f64 v[4:5], v[10:11], -v[18:19]
	v_add_f64 v[22:23], v[22:23], v[14:15]
	v_fma_f64 v[14:15], s[8:9], v[4:5], v[24:25]
	v_fmac_f64_e32 v[24:25], s[2:3], v[4:5]
	v_add_f64 v[4:5], v[26:27], v[10:11]
	v_add_f64 v[34:35], v[4:5], v[18:19]
	;; [unrolled: 1-line block ×3, first 2 shown]
	v_fmac_f64_e32 v[26:27], -0.5, v[4:5]
	v_add_f64 v[4:5], v[8:9], -v[16:17]
	v_fma_f64 v[10:11], s[2:3], v[4:5], v[26:27]
	v_fmac_f64_e32 v[26:27], s[8:9], v[4:5]
	v_add_f64 v[20:21], v[20:21], v[12:13]
	v_mul_f64 v[18:19], v[10:11], s[8:9]
	v_mul_f64 v[36:37], v[26:27], s[8:9]
	v_mul_f64 v[38:39], v[10:11], 0.5
	v_mul_f64 v[26:27], v[26:27], -0.5
	v_add_f64 v[4:5], v[20:21], v[32:33]
	v_fmac_f64_e32 v[18:19], 0.5, v[14:15]
	v_fmac_f64_e32 v[36:37], -0.5, v[24:25]
	v_add_f64 v[6:7], v[22:23], v[34:35]
	v_fmac_f64_e32 v[38:39], s[2:3], v[14:15]
	v_fmac_f64_e32 v[26:27], s[2:3], v[24:25]
	v_add_f64 v[8:9], v[28:29], v[18:19]
	v_add_f64 v[12:13], v[0:1], v[36:37]
	;; [unrolled: 1-line block ×4, first 2 shown]
	v_add_f64 v[16:17], v[20:21], -v[32:33]
	v_add_f64 v[20:21], v[28:29], -v[18:19]
	v_add_f64 v[0:1], v[0:1], -v[36:37]
	v_add_f64 v[18:19], v[22:23], -v[34:35]
	v_add_f64 v[22:23], v[30:31], -v[38:39]
	v_add_f64 v[2:3], v[2:3], -v[26:27]
	ds_write_b128 v96, v[4:7]
	ds_write_b128 v96, v[8:11] offset:960
	ds_write_b128 v96, v[12:15] offset:1920
	;; [unrolled: 1-line block ×5, first 2 shown]
	s_waitcnt lgkmcnt(0)
	s_barrier
	s_and_b64 exec, exec, s[0:1]
	s_cbranch_execz .LBB0_15
; %bb.14:
	global_load_dwordx4 v[0:3], v94, s[14:15]
	global_load_dwordx4 v[4:7], v94, s[14:15] offset:576
	global_load_dwordx4 v[8:11], v94, s[14:15] offset:1152
	;; [unrolled: 1-line block ×4, first 2 shown]
	ds_read_b128 v[20:23], v96
	ds_read_b128 v[24:27], v96 offset:576
	ds_read_b128 v[28:31], v96 offset:1152
	;; [unrolled: 1-line block ×3, first 2 shown]
	global_load_dwordx4 v[36:39], v94, s[14:15] offset:2880
	global_load_dwordx4 v[40:43], v94, s[14:15] offset:3456
	;; [unrolled: 1-line block ×3, first 2 shown]
	v_mov_b32_e32 v49, s15
	v_mad_u64_u32 v[58:59], s[2:3], s4, v89, 0
	v_add_co_u32_e32 v52, vcc, s14, v94
	v_mad_u64_u32 v[56:57], s[0:1], s6, v88, 0
	s_movk_i32 s3, 0x1000
	v_addc_co_u32_e32 v53, vcc, 0, v49, vcc
	v_mov_b32_e32 v48, v57
	v_mov_b32_e32 v50, v59
	v_add_co_u32_e32 v60, vcc, s3, v52
	v_mad_u64_u32 v[48:49], s[6:7], s7, v88, v[48:49]
	v_mad_u64_u32 v[50:51], s[6:7], s5, v89, v[50:51]
	v_addc_co_u32_e32 v61, vcc, 0, v53, vcc
	v_mov_b32_e32 v57, v48
	v_mov_b32_e32 v59, v50
	global_load_dwordx4 v[48:51], v[60:61], off offset:512
	global_load_dwordx4 v[52:55], v[60:61], off offset:1088
	v_lshlrev_b64 v[56:57], 4, v[56:57]
	v_mov_b32_e32 v62, s13
	v_add_co_u32_e32 v56, vcc, s12, v56
	v_lshlrev_b64 v[58:59], 4, v[58:59]
	v_addc_co_u32_e32 v57, vcc, v62, v57, vcc
	v_add_co_u32_e32 v56, vcc, v56, v58
	v_mov_b32_e32 v70, 0x240
	v_addc_co_u32_e32 v57, vcc, v57, v59, vcc
	s_mov_b32 s0, 0x16c16c17
	s_mul_i32 s2, s5, 0x240
	v_mad_u64_u32 v[58:59], s[6:7], s4, v70, v[56:57]
	s_mov_b32 s1, 0x3f66c16c
	v_add_u32_e32 v59, s2, v59
	v_mad_u64_u32 v[60:61], s[6:7], s4, v70, v[58:59]
	v_add_u32_e32 v61, s2, v61
	s_waitcnt vmcnt(9) lgkmcnt(3)
	v_mul_f64 v[62:63], v[22:23], v[2:3]
	v_mul_f64 v[2:3], v[20:21], v[2:3]
	s_waitcnt vmcnt(8) lgkmcnt(2)
	v_mul_f64 v[64:65], v[26:27], v[6:7]
	v_mul_f64 v[6:7], v[24:25], v[6:7]
	;; [unrolled: 3-line block ×3, first 2 shown]
	v_fmac_f64_e32 v[62:63], v[20:21], v[0:1]
	v_fma_f64 v[2:3], v[0:1], v[22:23], -v[2:3]
	v_fmac_f64_e32 v[64:65], v[24:25], v[4:5]
	v_fma_f64 v[6:7], v[4:5], v[26:27], -v[6:7]
	v_fmac_f64_e32 v[66:67], v[28:29], v[8:9]
	v_fma_f64 v[10:11], v[8:9], v[30:31], -v[10:11]
	v_mul_f64 v[0:1], v[62:63], s[0:1]
	v_mul_f64 v[2:3], v[2:3], s[0:1]
	v_mul_f64 v[4:5], v[64:65], s[0:1]
	v_mul_f64 v[6:7], v[6:7], s[0:1]
	v_mul_f64 v[8:9], v[66:67], s[0:1]
	v_mul_f64 v[10:11], v[10:11], s[0:1]
	global_store_dwordx4 v[56:57], v[0:3], off
	global_store_dwordx4 v[58:59], v[4:7], off
	;; [unrolled: 1-line block ×3, first 2 shown]
	ds_read_b128 v[0:3], v96 offset:2304
	ds_read_b128 v[4:7], v96 offset:2880
	s_waitcnt vmcnt(9) lgkmcnt(2)
	v_mul_f64 v[68:69], v[34:35], v[14:15]
	v_mul_f64 v[14:15], v[32:33], v[14:15]
	v_fmac_f64_e32 v[68:69], v[32:33], v[12:13]
	s_waitcnt vmcnt(8) lgkmcnt(1)
	v_mul_f64 v[8:9], v[2:3], v[18:19]
	v_fma_f64 v[14:15], v[12:13], v[34:35], -v[14:15]
	v_mad_u64_u32 v[20:21], s[6:7], s4, v70, v[60:61]
	v_fmac_f64_e32 v[8:9], v[0:1], v[16:17]
	v_mul_f64 v[0:1], v[0:1], v[18:19]
	v_mul_f64 v[12:13], v[68:69], s[0:1]
	;; [unrolled: 1-line block ×3, first 2 shown]
	v_add_u32_e32 v21, s2, v21
	v_fma_f64 v[0:1], v[16:17], v[2:3], -v[0:1]
	global_store_dwordx4 v[20:21], v[12:15], off
	v_mul_f64 v[10:11], v[0:1], s[0:1]
	v_mad_u64_u32 v[12:13], s[6:7], s4, v70, v[20:21]
	s_waitcnt vmcnt(8) lgkmcnt(0)
	v_mul_f64 v[0:1], v[6:7], v[38:39]
	v_mul_f64 v[2:3], v[4:5], v[38:39]
	;; [unrolled: 1-line block ×3, first 2 shown]
	v_add_u32_e32 v13, s2, v13
	v_fmac_f64_e32 v[0:1], v[4:5], v[36:37]
	v_fma_f64 v[2:3], v[36:37], v[6:7], -v[2:3]
	ds_read_b128 v[4:7], v96 offset:3456
	global_store_dwordx4 v[12:13], v[8:11], off
	v_mad_u64_u32 v[12:13], s[6:7], s4, v70, v[12:13]
	v_mul_f64 v[0:1], v[0:1], s[0:1]
	v_mul_f64 v[2:3], v[2:3], s[0:1]
	v_add_u32_e32 v13, s2, v13
	global_store_dwordx4 v[12:13], v[0:3], off
	ds_read_b128 v[0:3], v96 offset:4032
	s_waitcnt vmcnt(9) lgkmcnt(1)
	v_mul_f64 v[8:9], v[6:7], v[42:43]
	v_fmac_f64_e32 v[8:9], v[4:5], v[40:41]
	v_mul_f64 v[4:5], v[4:5], v[42:43]
	v_fma_f64 v[4:5], v[40:41], v[6:7], -v[4:5]
	v_mul_f64 v[10:11], v[4:5], s[0:1]
	s_waitcnt vmcnt(8) lgkmcnt(0)
	v_mul_f64 v[4:5], v[2:3], v[46:47]
	v_fmac_f64_e32 v[4:5], v[0:1], v[44:45]
	v_mul_f64 v[0:1], v[0:1], v[46:47]
	v_mad_u64_u32 v[12:13], s[6:7], s4, v70, v[12:13]
	v_fma_f64 v[0:1], v[44:45], v[2:3], -v[0:1]
	v_mul_f64 v[8:9], v[8:9], s[0:1]
	v_add_u32_e32 v13, s2, v13
	v_mul_f64 v[6:7], v[0:1], s[0:1]
	ds_read_b128 v[0:3], v96 offset:4608
	global_store_dwordx4 v[12:13], v[8:11], off
	v_mad_u64_u32 v[12:13], s[6:7], s4, v70, v[12:13]
	v_mul_f64 v[4:5], v[4:5], s[0:1]
	v_add_u32_e32 v13, s2, v13
	global_store_dwordx4 v[12:13], v[4:7], off
	ds_read_b128 v[4:7], v96 offset:5184
	s_waitcnt vmcnt(9) lgkmcnt(1)
	v_mul_f64 v[8:9], v[2:3], v[50:51]
	v_fmac_f64_e32 v[8:9], v[0:1], v[48:49]
	v_mul_f64 v[0:1], v[0:1], v[50:51]
	v_fma_f64 v[0:1], v[48:49], v[2:3], -v[0:1]
	v_mul_f64 v[10:11], v[0:1], s[0:1]
	v_mad_u64_u32 v[12:13], s[6:7], s4, v70, v[12:13]
	s_waitcnt vmcnt(8) lgkmcnt(0)
	v_mul_f64 v[0:1], v[6:7], v[54:55]
	v_mul_f64 v[2:3], v[4:5], v[54:55]
	v_add_u32_e32 v13, s2, v13
	v_fmac_f64_e32 v[0:1], v[4:5], v[52:53]
	v_fma_f64 v[2:3], v[52:53], v[6:7], -v[2:3]
	v_mul_f64 v[8:9], v[8:9], s[0:1]
	v_mul_f64 v[0:1], v[0:1], s[0:1]
	;; [unrolled: 1-line block ×3, first 2 shown]
	v_mad_u64_u32 v[4:5], s[0:1], s4, v70, v[12:13]
	v_add_u32_e32 v5, s2, v5
	global_store_dwordx4 v[12:13], v[8:11], off
	global_store_dwordx4 v[4:5], v[0:3], off
.LBB0_15:
	s_endpgm
	.section	.rodata,"a",@progbits
	.p2align	6, 0x0
	.amdhsa_kernel bluestein_single_fwd_len360_dim1_dp_op_CI_CI
		.amdhsa_group_segment_fixed_size 23040
		.amdhsa_private_segment_fixed_size 0
		.amdhsa_kernarg_size 104
		.amdhsa_user_sgpr_count 6
		.amdhsa_user_sgpr_private_segment_buffer 1
		.amdhsa_user_sgpr_dispatch_ptr 0
		.amdhsa_user_sgpr_queue_ptr 0
		.amdhsa_user_sgpr_kernarg_segment_ptr 1
		.amdhsa_user_sgpr_dispatch_id 0
		.amdhsa_user_sgpr_flat_scratch_init 0
		.amdhsa_user_sgpr_kernarg_preload_length 0
		.amdhsa_user_sgpr_kernarg_preload_offset 0
		.amdhsa_user_sgpr_private_segment_size 0
		.amdhsa_uses_dynamic_stack 0
		.amdhsa_system_sgpr_private_segment_wavefront_offset 0
		.amdhsa_system_sgpr_workgroup_id_x 1
		.amdhsa_system_sgpr_workgroup_id_y 0
		.amdhsa_system_sgpr_workgroup_id_z 0
		.amdhsa_system_sgpr_workgroup_info 0
		.amdhsa_system_vgpr_workitem_id 0
		.amdhsa_next_free_vgpr 188
		.amdhsa_next_free_sgpr 28
		.amdhsa_accum_offset 188
		.amdhsa_reserve_vcc 1
		.amdhsa_reserve_flat_scratch 0
		.amdhsa_float_round_mode_32 0
		.amdhsa_float_round_mode_16_64 0
		.amdhsa_float_denorm_mode_32 3
		.amdhsa_float_denorm_mode_16_64 3
		.amdhsa_dx10_clamp 1
		.amdhsa_ieee_mode 1
		.amdhsa_fp16_overflow 0
		.amdhsa_tg_split 0
		.amdhsa_exception_fp_ieee_invalid_op 0
		.amdhsa_exception_fp_denorm_src 0
		.amdhsa_exception_fp_ieee_div_zero 0
		.amdhsa_exception_fp_ieee_overflow 0
		.amdhsa_exception_fp_ieee_underflow 0
		.amdhsa_exception_fp_ieee_inexact 0
		.amdhsa_exception_int_div_zero 0
	.end_amdhsa_kernel
	.text
.Lfunc_end0:
	.size	bluestein_single_fwd_len360_dim1_dp_op_CI_CI, .Lfunc_end0-bluestein_single_fwd_len360_dim1_dp_op_CI_CI
                                        ; -- End function
	.section	.AMDGPU.csdata,"",@progbits
; Kernel info:
; codeLenInByte = 7876
; NumSgprs: 32
; NumVgprs: 188
; NumAgprs: 0
; TotalNumVgprs: 188
; ScratchSize: 0
; MemoryBound: 0
; FloatMode: 240
; IeeeMode: 1
; LDSByteSize: 23040 bytes/workgroup (compile time only)
; SGPRBlocks: 3
; VGPRBlocks: 23
; NumSGPRsForWavesPerEU: 32
; NumVGPRsForWavesPerEU: 188
; AccumOffset: 188
; Occupancy: 2
; WaveLimiterHint : 1
; COMPUTE_PGM_RSRC2:SCRATCH_EN: 0
; COMPUTE_PGM_RSRC2:USER_SGPR: 6
; COMPUTE_PGM_RSRC2:TRAP_HANDLER: 0
; COMPUTE_PGM_RSRC2:TGID_X_EN: 1
; COMPUTE_PGM_RSRC2:TGID_Y_EN: 0
; COMPUTE_PGM_RSRC2:TGID_Z_EN: 0
; COMPUTE_PGM_RSRC2:TIDIG_COMP_CNT: 0
; COMPUTE_PGM_RSRC3_GFX90A:ACCUM_OFFSET: 46
; COMPUTE_PGM_RSRC3_GFX90A:TG_SPLIT: 0
	.text
	.p2alignl 6, 3212836864
	.fill 256, 4, 3212836864
	.type	__hip_cuid_df19ac3c923ce43c,@object ; @__hip_cuid_df19ac3c923ce43c
	.section	.bss,"aw",@nobits
	.globl	__hip_cuid_df19ac3c923ce43c
__hip_cuid_df19ac3c923ce43c:
	.byte	0                               ; 0x0
	.size	__hip_cuid_df19ac3c923ce43c, 1

	.ident	"AMD clang version 19.0.0git (https://github.com/RadeonOpenCompute/llvm-project roc-6.4.0 25133 c7fe45cf4b819c5991fe208aaa96edf142730f1d)"
	.section	".note.GNU-stack","",@progbits
	.addrsig
	.addrsig_sym __hip_cuid_df19ac3c923ce43c
	.amdgpu_metadata
---
amdhsa.kernels:
  - .agpr_count:     0
    .args:
      - .actual_access:  read_only
        .address_space:  global
        .offset:         0
        .size:           8
        .value_kind:     global_buffer
      - .actual_access:  read_only
        .address_space:  global
        .offset:         8
        .size:           8
        .value_kind:     global_buffer
      - .actual_access:  read_only
        .address_space:  global
        .offset:         16
        .size:           8
        .value_kind:     global_buffer
      - .actual_access:  read_only
        .address_space:  global
        .offset:         24
        .size:           8
        .value_kind:     global_buffer
      - .actual_access:  read_only
        .address_space:  global
        .offset:         32
        .size:           8
        .value_kind:     global_buffer
      - .offset:         40
        .size:           8
        .value_kind:     by_value
      - .address_space:  global
        .offset:         48
        .size:           8
        .value_kind:     global_buffer
      - .address_space:  global
        .offset:         56
        .size:           8
        .value_kind:     global_buffer
      - .address_space:  global
        .offset:         64
        .size:           8
        .value_kind:     global_buffer
      - .address_space:  global
        .offset:         72
        .size:           8
        .value_kind:     global_buffer
      - .offset:         80
        .size:           4
        .value_kind:     by_value
      - .address_space:  global
        .offset:         88
        .size:           8
        .value_kind:     global_buffer
      - .address_space:  global
        .offset:         96
        .size:           8
        .value_kind:     global_buffer
    .group_segment_fixed_size: 23040
    .kernarg_segment_align: 8
    .kernarg_segment_size: 104
    .language:       OpenCL C
    .language_version:
      - 2
      - 0
    .max_flat_workgroup_size: 240
    .name:           bluestein_single_fwd_len360_dim1_dp_op_CI_CI
    .private_segment_fixed_size: 0
    .sgpr_count:     32
    .sgpr_spill_count: 0
    .symbol:         bluestein_single_fwd_len360_dim1_dp_op_CI_CI.kd
    .uniform_work_group_size: 1
    .uses_dynamic_stack: false
    .vgpr_count:     188
    .vgpr_spill_count: 0
    .wavefront_size: 64
amdhsa.target:   amdgcn-amd-amdhsa--gfx90a
amdhsa.version:
  - 1
  - 2
...

	.end_amdgpu_metadata
